;; amdgpu-corpus repo=ROCm/rocFFT kind=compiled arch=gfx1030 opt=O3
	.text
	.amdgcn_target "amdgcn-amd-amdhsa--gfx1030"
	.amdhsa_code_object_version 6
	.protected	fft_rtc_fwd_len210_factors_10_7_3_wgs_60_tpt_30_half_ip_CI_unitstride_sbrr_C2R_dirReg ; -- Begin function fft_rtc_fwd_len210_factors_10_7_3_wgs_60_tpt_30_half_ip_CI_unitstride_sbrr_C2R_dirReg
	.globl	fft_rtc_fwd_len210_factors_10_7_3_wgs_60_tpt_30_half_ip_CI_unitstride_sbrr_C2R_dirReg
	.p2align	8
	.type	fft_rtc_fwd_len210_factors_10_7_3_wgs_60_tpt_30_half_ip_CI_unitstride_sbrr_C2R_dirReg,@function
fft_rtc_fwd_len210_factors_10_7_3_wgs_60_tpt_30_half_ip_CI_unitstride_sbrr_C2R_dirReg: ; @fft_rtc_fwd_len210_factors_10_7_3_wgs_60_tpt_30_half_ip_CI_unitstride_sbrr_C2R_dirReg
; %bb.0:
	s_clause 0x2
	s_load_dwordx4 s[8:11], s[4:5], 0x0
	s_load_dwordx2 s[2:3], s[4:5], 0x50
	s_load_dwordx2 s[12:13], s[4:5], 0x18
	v_mul_u32_u24_e32 v1, 0x889, v0
	v_mov_b32_e32 v3, 0
	v_lshrrev_b32_e32 v9, 16, v1
	v_mov_b32_e32 v1, 0
	v_mov_b32_e32 v6, v3
	v_mov_b32_e32 v2, 0
	v_lshl_add_u32 v5, s6, 1, v9
	s_waitcnt lgkmcnt(0)
	v_cmp_lt_u64_e64 s0, s[10:11], 2
	s_and_b32 vcc_lo, exec_lo, s0
	s_cbranch_vccnz .LBB0_8
; %bb.1:
	s_load_dwordx2 s[0:1], s[4:5], 0x10
	v_mov_b32_e32 v1, 0
	s_add_u32 s6, s12, 8
	v_mov_b32_e32 v2, 0
	s_addc_u32 s7, s13, 0
	s_mov_b64 s[16:17], 1
	s_waitcnt lgkmcnt(0)
	s_add_u32 s14, s0, 8
	s_addc_u32 s15, s1, 0
.LBB0_2:                                ; =>This Inner Loop Header: Depth=1
	s_load_dwordx2 s[18:19], s[14:15], 0x0
                                        ; implicit-def: $vgpr7_vgpr8
	s_mov_b32 s0, exec_lo
	s_waitcnt lgkmcnt(0)
	v_or_b32_e32 v4, s19, v6
	v_cmpx_ne_u64_e32 0, v[3:4]
	s_xor_b32 s1, exec_lo, s0
	s_cbranch_execz .LBB0_4
; %bb.3:                                ;   in Loop: Header=BB0_2 Depth=1
	v_cvt_f32_u32_e32 v4, s18
	v_cvt_f32_u32_e32 v7, s19
	s_sub_u32 s0, 0, s18
	s_subb_u32 s20, 0, s19
	v_fmac_f32_e32 v4, 0x4f800000, v7
	v_rcp_f32_e32 v4, v4
	v_mul_f32_e32 v4, 0x5f7ffffc, v4
	v_mul_f32_e32 v7, 0x2f800000, v4
	v_trunc_f32_e32 v7, v7
	v_fmac_f32_e32 v4, 0xcf800000, v7
	v_cvt_u32_f32_e32 v7, v7
	v_cvt_u32_f32_e32 v4, v4
	v_mul_lo_u32 v8, s0, v7
	v_mul_hi_u32 v10, s0, v4
	v_mul_lo_u32 v11, s20, v4
	v_add_nc_u32_e32 v8, v10, v8
	v_mul_lo_u32 v10, s0, v4
	v_add_nc_u32_e32 v8, v8, v11
	v_mul_hi_u32 v11, v4, v10
	v_mul_lo_u32 v12, v4, v8
	v_mul_hi_u32 v13, v4, v8
	v_mul_hi_u32 v14, v7, v10
	v_mul_lo_u32 v10, v7, v10
	v_mul_hi_u32 v15, v7, v8
	v_mul_lo_u32 v8, v7, v8
	v_add_co_u32 v11, vcc_lo, v11, v12
	v_add_co_ci_u32_e32 v12, vcc_lo, 0, v13, vcc_lo
	v_add_co_u32 v10, vcc_lo, v11, v10
	v_add_co_ci_u32_e32 v10, vcc_lo, v12, v14, vcc_lo
	v_add_co_ci_u32_e32 v11, vcc_lo, 0, v15, vcc_lo
	v_add_co_u32 v8, vcc_lo, v10, v8
	v_add_co_ci_u32_e32 v10, vcc_lo, 0, v11, vcc_lo
	v_add_co_u32 v4, vcc_lo, v4, v8
	v_add_co_ci_u32_e32 v7, vcc_lo, v7, v10, vcc_lo
	v_mul_hi_u32 v8, s0, v4
	v_mul_lo_u32 v11, s20, v4
	v_mul_lo_u32 v10, s0, v7
	v_add_nc_u32_e32 v8, v8, v10
	v_mul_lo_u32 v10, s0, v4
	v_add_nc_u32_e32 v8, v8, v11
	v_mul_hi_u32 v11, v4, v10
	v_mul_lo_u32 v12, v4, v8
	v_mul_hi_u32 v13, v4, v8
	v_mul_hi_u32 v14, v7, v10
	v_mul_lo_u32 v10, v7, v10
	v_mul_hi_u32 v15, v7, v8
	v_mul_lo_u32 v8, v7, v8
	v_add_co_u32 v11, vcc_lo, v11, v12
	v_add_co_ci_u32_e32 v12, vcc_lo, 0, v13, vcc_lo
	v_add_co_u32 v10, vcc_lo, v11, v10
	v_add_co_ci_u32_e32 v10, vcc_lo, v12, v14, vcc_lo
	v_add_co_ci_u32_e32 v11, vcc_lo, 0, v15, vcc_lo
	v_add_co_u32 v8, vcc_lo, v10, v8
	v_add_co_ci_u32_e32 v10, vcc_lo, 0, v11, vcc_lo
	v_add_co_u32 v4, vcc_lo, v4, v8
	v_add_co_ci_u32_e32 v12, vcc_lo, v7, v10, vcc_lo
	v_mul_hi_u32 v14, v5, v4
	v_mad_u64_u32 v[10:11], null, v6, v4, 0
	v_mad_u64_u32 v[7:8], null, v5, v12, 0
	;; [unrolled: 1-line block ×3, first 2 shown]
	v_add_co_u32 v4, vcc_lo, v14, v7
	v_add_co_ci_u32_e32 v7, vcc_lo, 0, v8, vcc_lo
	v_add_co_u32 v4, vcc_lo, v4, v10
	v_add_co_ci_u32_e32 v4, vcc_lo, v7, v11, vcc_lo
	v_add_co_ci_u32_e32 v7, vcc_lo, 0, v13, vcc_lo
	v_add_co_u32 v4, vcc_lo, v4, v12
	v_add_co_ci_u32_e32 v10, vcc_lo, 0, v7, vcc_lo
	v_mul_lo_u32 v11, s19, v4
	v_mad_u64_u32 v[7:8], null, s18, v4, 0
	v_mul_lo_u32 v12, s18, v10
	v_sub_co_u32 v7, vcc_lo, v5, v7
	v_add3_u32 v8, v8, v12, v11
	v_sub_nc_u32_e32 v11, v6, v8
	v_subrev_co_ci_u32_e64 v11, s0, s19, v11, vcc_lo
	v_add_co_u32 v12, s0, v4, 2
	v_add_co_ci_u32_e64 v13, s0, 0, v10, s0
	v_sub_co_u32 v14, s0, v7, s18
	v_sub_co_ci_u32_e32 v8, vcc_lo, v6, v8, vcc_lo
	v_subrev_co_ci_u32_e64 v11, s0, 0, v11, s0
	v_cmp_le_u32_e32 vcc_lo, s18, v14
	v_cmp_eq_u32_e64 s0, s19, v8
	v_cndmask_b32_e64 v14, 0, -1, vcc_lo
	v_cmp_le_u32_e32 vcc_lo, s19, v11
	v_cndmask_b32_e64 v15, 0, -1, vcc_lo
	v_cmp_le_u32_e32 vcc_lo, s18, v7
	;; [unrolled: 2-line block ×3, first 2 shown]
	v_cndmask_b32_e64 v16, 0, -1, vcc_lo
	v_cmp_eq_u32_e32 vcc_lo, s19, v11
	v_cndmask_b32_e64 v7, v16, v7, s0
	v_cndmask_b32_e32 v11, v15, v14, vcc_lo
	v_add_co_u32 v14, vcc_lo, v4, 1
	v_add_co_ci_u32_e32 v15, vcc_lo, 0, v10, vcc_lo
	v_cmp_ne_u32_e32 vcc_lo, 0, v11
	v_cndmask_b32_e32 v8, v15, v13, vcc_lo
	v_cndmask_b32_e32 v11, v14, v12, vcc_lo
	v_cmp_ne_u32_e32 vcc_lo, 0, v7
	v_cndmask_b32_e32 v8, v10, v8, vcc_lo
	v_cndmask_b32_e32 v7, v4, v11, vcc_lo
.LBB0_4:                                ;   in Loop: Header=BB0_2 Depth=1
	s_andn2_saveexec_b32 s0, s1
	s_cbranch_execz .LBB0_6
; %bb.5:                                ;   in Loop: Header=BB0_2 Depth=1
	v_cvt_f32_u32_e32 v4, s18
	s_sub_i32 s1, 0, s18
	v_rcp_iflag_f32_e32 v4, v4
	v_mul_f32_e32 v4, 0x4f7ffffe, v4
	v_cvt_u32_f32_e32 v4, v4
	v_mul_lo_u32 v7, s1, v4
	v_mul_hi_u32 v7, v4, v7
	v_add_nc_u32_e32 v4, v4, v7
	v_mul_hi_u32 v4, v5, v4
	v_mul_lo_u32 v7, v4, s18
	v_add_nc_u32_e32 v8, 1, v4
	v_sub_nc_u32_e32 v7, v5, v7
	v_subrev_nc_u32_e32 v10, s18, v7
	v_cmp_le_u32_e32 vcc_lo, s18, v7
	v_cndmask_b32_e32 v7, v7, v10, vcc_lo
	v_cndmask_b32_e32 v4, v4, v8, vcc_lo
	v_cmp_le_u32_e32 vcc_lo, s18, v7
	v_add_nc_u32_e32 v8, 1, v4
	v_cndmask_b32_e32 v7, v4, v8, vcc_lo
	v_mov_b32_e32 v8, v3
.LBB0_6:                                ;   in Loop: Header=BB0_2 Depth=1
	s_or_b32 exec_lo, exec_lo, s0
	s_load_dwordx2 s[0:1], s[6:7], 0x0
	v_mul_lo_u32 v4, v8, s18
	v_mul_lo_u32 v12, v7, s19
	v_mad_u64_u32 v[10:11], null, v7, s18, 0
	s_add_u32 s16, s16, 1
	s_addc_u32 s17, s17, 0
	s_add_u32 s6, s6, 8
	s_addc_u32 s7, s7, 0
	;; [unrolled: 2-line block ×3, first 2 shown]
	v_add3_u32 v4, v11, v12, v4
	v_sub_co_u32 v5, vcc_lo, v5, v10
	v_sub_co_ci_u32_e32 v4, vcc_lo, v6, v4, vcc_lo
	s_waitcnt lgkmcnt(0)
	v_mul_lo_u32 v6, s1, v5
	v_mul_lo_u32 v4, s0, v4
	v_mad_u64_u32 v[1:2], null, s0, v5, v[1:2]
	v_cmp_ge_u64_e64 s0, s[16:17], s[10:11]
	s_and_b32 vcc_lo, exec_lo, s0
	v_add3_u32 v2, v6, v2, v4
	s_cbranch_vccnz .LBB0_9
; %bb.7:                                ;   in Loop: Header=BB0_2 Depth=1
	v_mov_b32_e32 v5, v7
	v_mov_b32_e32 v6, v8
	s_branch .LBB0_2
.LBB0_8:
	v_mov_b32_e32 v8, v6
	v_mov_b32_e32 v7, v5
.LBB0_9:
	s_lshl_b64 s[0:1], s[10:11], 3
	v_and_b32_e32 v6, 1, v9
	s_add_u32 s0, s12, s0
	s_addc_u32 s1, s13, s1
	v_mul_hi_u32 v3, 0x8888889, v0
	s_load_dwordx2 s[0:1], s[0:1], 0x0
	s_load_dwordx2 s[4:5], s[4:5], 0x20
	v_cmp_eq_u32_e32 vcc_lo, 1, v6
	v_cndmask_b32_e64 v6, 0, 0xd3, vcc_lo
	v_mul_u32_u24_e32 v3, 30, v3
	v_lshlrev_b32_e32 v16, 2, v6
	v_sub_nc_u32_e32 v0, v0, v3
	s_waitcnt lgkmcnt(0)
	v_mul_lo_u32 v4, s0, v8
	v_mul_lo_u32 v5, s1, v7
	v_mad_u64_u32 v[1:2], null, s0, v7, v[1:2]
	v_cmp_gt_u64_e32 vcc_lo, s[4:5], v[7:8]
	v_add3_u32 v2, v5, v2, v4
	v_lshlrev_b64 v[2:3], 2, v[1:2]
	s_and_saveexec_b32 s1, vcc_lo
	s_cbranch_execz .LBB0_13
; %bb.10:
	v_mov_b32_e32 v1, 0
	v_add_co_u32 v4, s0, s2, v2
	v_add_co_ci_u32_e64 v5, s0, s3, v3, s0
	v_lshlrev_b64 v[7:8], 2, v[0:1]
	v_lshlrev_b32_e32 v1, 2, v0
	s_mov_b32 s4, exec_lo
	v_add3_u32 v1, 0, v16, v1
	v_add_co_u32 v7, s0, v4, v7
	v_add_co_ci_u32_e64 v8, s0, v5, v8, s0
	s_clause 0x6
	global_load_dword v9, v[7:8], off
	global_load_dword v10, v[7:8], off offset:120
	global_load_dword v11, v[7:8], off offset:240
	;; [unrolled: 1-line block ×6, first 2 shown]
	s_waitcnt vmcnt(5)
	ds_write2_b32 v1, v9, v10 offset1:30
	s_waitcnt vmcnt(3)
	ds_write2_b32 v1, v11, v12 offset0:60 offset1:90
	s_waitcnt vmcnt(1)
	ds_write2_b32 v1, v13, v14 offset0:120 offset1:150
	s_waitcnt vmcnt(0)
	ds_write_b32 v1, v7 offset:720
	v_cmpx_eq_u32_e32 29, v0
	s_cbranch_execz .LBB0_12
; %bb.11:
	global_load_dword v4, v[4:5], off offset:840
	v_mov_b32_e32 v0, 29
	s_waitcnt vmcnt(0)
	ds_write_b32 v1, v4 offset:724
.LBB0_12:
	s_or_b32 exec_lo, exec_lo, s4
.LBB0_13:
	s_or_b32 exec_lo, exec_lo, s1
	v_lshl_add_u32 v14, v6, 2, 0
	v_lshlrev_b32_e32 v1, 2, v0
	s_waitcnt lgkmcnt(0)
	s_barrier
	buffer_gl0_inv
	s_mov_b32 s1, exec_lo
	v_add_nc_u32_e32 v15, v14, v1
	v_sub_nc_u32_e32 v7, v14, v1
                                        ; implicit-def: $vgpr4_vgpr5
	ds_read_u16 v10, v15
	ds_read_u16 v11, v7 offset:840
	s_waitcnt lgkmcnt(0)
	v_add_f16_e32 v9, v11, v10
	v_sub_f16_e32 v8, v10, v11
	v_cmpx_ne_u32_e32 0, v0
	s_xor_b32 s1, exec_lo, s1
	s_cbranch_execz .LBB0_15
; %bb.14:
	v_mov_b32_e32 v1, 0
	v_add_f16_e32 v9, v11, v10
	v_sub_f16_e32 v10, v10, v11
	v_lshlrev_b64 v[4:5], 2, v[0:1]
	v_add_co_u32 v4, s0, s8, v4
	v_add_co_ci_u32_e64 v5, s0, s9, v5, s0
	global_load_dword v4, v[4:5], off offset:800
	ds_read_u16 v5, v7 offset:842
	ds_read_u16 v8, v15 offset:2
	s_waitcnt lgkmcnt(0)
	v_add_f16_e32 v11, v5, v8
	v_sub_f16_e32 v5, v8, v5
	s_waitcnt vmcnt(0)
	v_lshrrev_b32_e32 v12, 16, v4
	v_fma_f16 v13, -v10, v12, v9
	v_fma_f16 v17, v11, v12, -v5
	v_fma_f16 v8, v11, v12, v5
	v_fma_f16 v9, v10, v12, v9
	v_fmac_f16_e32 v13, v4, v11
	v_fmac_f16_e32 v17, v10, v4
	;; [unrolled: 1-line block ×3, first 2 shown]
	v_fma_f16 v9, -v4, v11, v9
	v_mov_b32_e32 v5, v1
	v_mov_b32_e32 v4, v0
	v_pack_b32_f16 v10, v13, v17
	ds_write_b32 v7, v10 offset:840
.LBB0_15:
	s_andn2_saveexec_b32 s0, s1
	s_cbranch_execz .LBB0_17
; %bb.16:
	ds_read_b32 v1, v14 offset:420
	v_mov_b32_e32 v4, 0
	v_mov_b32_e32 v5, 0
	s_waitcnt lgkmcnt(0)
	v_pk_mul_f16 v1, 0xc0004000, v1
	ds_write_b32 v14, v1 offset:420
.LBB0_17:
	s_or_b32 exec_lo, exec_lo, s0
	v_lshlrev_b64 v[4:5], 2, v[4:5]
	s_add_u32 s0, s8, 0x320
	s_addc_u32 s1, s9, 0
	v_perm_b32 v8, v8, v9, 0x5040100
	v_add_co_u32 v4, s0, s0, v4
	v_add_co_ci_u32_e64 v5, s0, s1, v5, s0
	s_mov_b32 s1, exec_lo
	s_clause 0x1
	global_load_dword v1, v[4:5], off offset:120
	global_load_dword v10, v[4:5], off offset:240
	ds_write_b32 v15, v8
	ds_read_b32 v8, v15 offset:120
	ds_read_b32 v9, v7 offset:720
	s_waitcnt lgkmcnt(0)
	v_add_f16_e32 v11, v8, v9
	v_add_f16_sdwa v12, v9, v8 dst_sel:DWORD dst_unused:UNUSED_PAD src0_sel:WORD_1 src1_sel:WORD_1
	v_sub_f16_e32 v13, v8, v9
	v_sub_f16_sdwa v8, v8, v9 dst_sel:DWORD dst_unused:UNUSED_PAD src0_sel:WORD_1 src1_sel:WORD_1
	s_waitcnt vmcnt(1)
	v_lshrrev_b32_e32 v17, 16, v1
	v_fma_f16 v9, v13, v17, v11
	v_fma_f16 v18, v12, v17, v8
	v_fma_f16 v11, -v13, v17, v11
	v_fma_f16 v8, v12, v17, -v8
	v_fma_f16 v9, -v1, v12, v9
	v_fmac_f16_e32 v18, v13, v1
	v_fmac_f16_e32 v11, v1, v12
	v_fmac_f16_e32 v8, v13, v1
	v_pack_b32_f16 v1, v9, v18
	s_waitcnt vmcnt(0)
	v_lshrrev_b32_e32 v9, 16, v10
	v_pack_b32_f16 v8, v11, v8
	ds_write_b32 v15, v1 offset:120
	ds_write_b32 v7, v8 offset:720
	ds_read_b32 v1, v15 offset:240
	ds_read_b32 v8, v7 offset:600
	s_waitcnt lgkmcnt(0)
	v_add_f16_e32 v11, v1, v8
	v_add_f16_sdwa v12, v8, v1 dst_sel:DWORD dst_unused:UNUSED_PAD src0_sel:WORD_1 src1_sel:WORD_1
	v_sub_f16_e32 v13, v1, v8
	v_sub_f16_sdwa v1, v1, v8 dst_sel:DWORD dst_unused:UNUSED_PAD src0_sel:WORD_1 src1_sel:WORD_1
	v_fma_f16 v8, v13, v9, v11
	v_fma_f16 v17, v12, v9, v1
	v_fma_f16 v11, -v13, v9, v11
	v_fma_f16 v1, v12, v9, -v1
	v_fma_f16 v8, -v10, v12, v8
	v_fmac_f16_e32 v17, v13, v10
	v_fmac_f16_e32 v11, v10, v12
	;; [unrolled: 1-line block ×3, first 2 shown]
	v_pack_b32_f16 v8, v8, v17
	v_pack_b32_f16 v1, v11, v1
	ds_write_b32 v15, v8 offset:240
	ds_write_b32 v7, v1 offset:600
	v_cmpx_gt_u32_e32 15, v0
	s_cbranch_execz .LBB0_19
; %bb.18:
	global_load_dword v1, v[4:5], off offset:360
	ds_read_b32 v4, v15 offset:360
	ds_read_b32 v5, v7 offset:480
	s_waitcnt lgkmcnt(0)
	v_add_f16_e32 v8, v4, v5
	v_add_f16_sdwa v9, v5, v4 dst_sel:DWORD dst_unused:UNUSED_PAD src0_sel:WORD_1 src1_sel:WORD_1
	v_sub_f16_e32 v10, v4, v5
	v_sub_f16_sdwa v4, v4, v5 dst_sel:DWORD dst_unused:UNUSED_PAD src0_sel:WORD_1 src1_sel:WORD_1
	s_waitcnt vmcnt(0)
	v_lshrrev_b32_e32 v11, 16, v1
	v_fma_f16 v5, v10, v11, v8
	v_fma_f16 v12, v9, v11, v4
	v_fma_f16 v8, -v10, v11, v8
	v_fma_f16 v4, v9, v11, -v4
	v_fma_f16 v5, -v1, v9, v5
	v_fmac_f16_e32 v12, v10, v1
	v_fmac_f16_e32 v8, v1, v9
	;; [unrolled: 1-line block ×3, first 2 shown]
	v_pack_b32_f16 v1, v5, v12
	v_pack_b32_f16 v4, v8, v4
	ds_write_b32 v15, v1 offset:360
	ds_write_b32 v7, v4 offset:480
.LBB0_19:
	s_or_b32 exec_lo, exec_lo, s1
	v_lshl_add_u32 v4, v0, 2, 0
	s_waitcnt lgkmcnt(0)
	s_barrier
	buffer_gl0_inv
	v_lshl_add_u32 v1, v6, 2, v4
	s_barrier
	buffer_gl0_inv
	s_mov_b32 s1, exec_lo
	ds_read2_b32 v[10:11], v1 offset0:63 offset1:84
	ds_read2_b32 v[6:7], v1 offset0:105 offset1:126
	ds_read_b32 v20, v1 offset:756
	ds_read2_b32 v[8:9], v1 offset0:147 offset1:168
	ds_read2_b32 v[12:13], v1 offset0:21 offset1:42
	ds_read_b32 v21, v15
	s_waitcnt lgkmcnt(0)
	s_barrier
	buffer_gl0_inv
	v_pk_add_f16 v26, v11, v7 neg_lo:[0,1] neg_hi:[0,1]
	v_pk_add_f16 v5, v10, v20
	v_pk_add_f16 v22, v6, v8 neg_lo:[0,1] neg_hi:[0,1]
	v_pk_add_f16 v24, v10, v20 neg_lo:[0,1] neg_hi:[0,1]
	v_pk_add_f16 v18, v13, v9
	v_pk_add_f16 v25, v8, v20 neg_lo:[0,1] neg_hi:[0,1]
	v_pk_fma_f16 v5, v5, 0.5, v12 op_sel_hi:[1,0,1] neg_lo:[1,0,0] neg_hi:[1,0,0]
	v_pk_mul_f16 v17, 0x3b9c, v22 op_sel_hi:[0,1]
	v_pk_mul_f16 v19, 0x38b4, v24 op_sel_hi:[0,1]
	v_pk_add_f16 v27, v13, v9 neg_lo:[0,1] neg_hi:[0,1]
	v_pk_fma_f16 v18, v18, 0.5, v21 op_sel_hi:[1,0,1] neg_lo:[1,0,0] neg_hi:[1,0,0]
	v_pk_add_f16 v28, v11, v13 neg_lo:[0,1] neg_hi:[0,1]
	v_pk_add_f16 v23, v5, v17 op_sel:[0,1] op_sel_hi:[1,0] neg_lo:[0,1] neg_hi:[0,1]
	v_pk_add_f16 v5, v5, v17 op_sel:[0,1] op_sel_hi:[1,0]
	v_pk_add_f16 v17, v6, v10 neg_lo:[0,1] neg_hi:[0,1]
	v_pk_mul_f16 v29, 0x38b4, v27 op_sel_hi:[0,1]
	v_pk_add_f16 v23, v23, v19 op_sel:[0,1] op_sel_hi:[1,0]
	v_pk_add_f16 v5, v5, v19 op_sel:[0,1] op_sel_hi:[1,0] neg_lo:[0,1] neg_hi:[0,1]
	v_pk_mul_f16 v19, 0x3b9c, v26 op_sel_hi:[0,1]
	v_pk_add_f16 v17, v17, v25
	v_bfi_b32 v25, 0xffff, v23, v5
	v_pk_add_f16 v30, v18, v19 op_sel:[0,1] op_sel_hi:[1,0] neg_lo:[0,1] neg_hi:[0,1]
	v_pk_add_f16 v18, v18, v19 op_sel:[0,1] op_sel_hi:[1,0]
	v_bfi_b32 v5, 0xffff, v5, v23
	v_pk_add_f16 v19, v7, v9 neg_lo:[0,1] neg_hi:[0,1]
	v_pk_fma_f16 v23, 0x34f2, v17, v25 op_sel_hi:[0,1,1]
	v_pk_add_f16 v25, v30, v29 op_sel:[0,1] op_sel_hi:[1,0]
	v_pk_add_f16 v18, v18, v29 op_sel:[0,1] op_sel_hi:[1,0] neg_lo:[0,1] neg_hi:[0,1]
	v_pk_fma_f16 v5, 0x34f2, v17, v5 op_sel_hi:[0,1,1]
	v_pk_add_f16 v19, v28, v19
	v_pk_mul_f16 v17, 0x3b9c, v23 op_sel_hi:[0,1]
	v_bfi_b32 v28, 0xffff, v25, v18
	v_bfi_b32 v18, 0xffff, v18, v25
	v_pk_mul_f16 v25, 0x34f2, v5 op_sel_hi:[0,1]
	v_pk_fma_f16 v30, 0x34f2, v23, v17 op_sel:[0,0,1] op_sel_hi:[0,1,0]
	v_pk_fma_f16 v17, 0x34f2, v23, v17 op_sel:[0,0,1] op_sel_hi:[0,1,0] neg_lo:[0,0,1] neg_hi:[0,0,1]
	v_pk_fma_f16 v23, 0x34f2, v19, v28 op_sel_hi:[0,1,1]
	v_pk_fma_f16 v28, 0x34f2, v19, v18 op_sel_hi:[0,1,1]
	v_pk_fma_f16 v29, 0x3b9cbb9c, v5, v25 op_sel:[0,0,1] op_sel_hi:[1,1,0] neg_lo:[0,0,1] neg_hi:[0,0,1]
	v_bfi_b32 v25, 0xffff, v30, v17
	v_pk_add_f16 v17, v28, v29 op_sel:[0,1] op_sel_hi:[1,0] neg_lo:[0,1] neg_hi:[0,1]
	v_pk_add_f16 v5, v23, v25 neg_lo:[0,1] neg_hi:[0,1]
	v_lshrrev_b32_e32 v18, 16, v17
	v_lshrrev_b32_e32 v19, 16, v5
	v_cmpx_gt_u32_e32 21, v0
	s_cbranch_execz .LBB0_21
; %bb.20:
	v_pk_add_f16 v32, v6, v8
	v_alignbit_b32 v29, v29, v29, 16
	v_pk_add_f16 v31, v12, v10
	v_pk_mul_f16 v24, 0x3b9c, v24 op_sel_hi:[0,1]
	v_pk_add_f16 v30, v21, v13
	v_pk_fma_f16 v12, v32, 0.5, v12 op_sel_hi:[1,0,1] neg_lo:[1,0,0] neg_hi:[1,0,0]
	v_pk_add_f16 v34, v11, v7
	v_pk_mul_f16 v22, 0x38b4, v22 op_sel_hi:[0,1]
	v_pk_add_f16 v28, v28, v29
	v_pk_add_f16 v29, v31, v6
	v_pk_add_f16 v31, v12, v24 op_sel:[0,1] op_sel_hi:[1,0] neg_lo:[0,1] neg_hi:[0,1]
	v_pk_add_f16 v12, v12, v24 op_sel:[0,1] op_sel_hi:[1,0]
	v_pk_add_f16 v30, v30, v11
	v_pk_add_f16 v6, v10, v6 neg_lo:[0,1] neg_hi:[0,1]
	v_pk_add_f16 v10, v20, v8 neg_lo:[0,1] neg_hi:[0,1]
	v_pk_mul_f16 v27, 0x3b9c, v27 op_sel_hi:[0,1]
	v_pk_fma_f16 v21, v34, 0.5, v21 op_sel_hi:[1,0,1] neg_lo:[1,0,0] neg_hi:[1,0,0]
	v_pk_add_f16 v24, v31, v22 op_sel:[0,1] op_sel_hi:[1,0] neg_lo:[0,1] neg_hi:[0,1]
	v_pk_add_f16 v12, v22, v12 op_sel:[1,0] op_sel_hi:[0,1]
	v_pk_add_f16 v30, v30, v7
	v_pk_add_f16 v6, v6, v10
	v_pk_mul_f16 v26, 0x38b4, v26 op_sel_hi:[0,1]
	v_pk_add_f16 v11, v13, v11 neg_lo:[0,1] neg_hi:[0,1]
	v_pk_add_f16 v10, v21, v27 op_sel:[0,1] op_sel_hi:[1,0]
	v_bfi_b32 v13, 0xffff, v24, v12
	v_pk_add_f16 v21, v21, v27 op_sel:[0,1] op_sel_hi:[1,0] neg_lo:[0,1] neg_hi:[0,1]
	v_pk_add_f16 v30, v30, v9
	v_pk_add_f16 v7, v9, v7 neg_lo:[0,1] neg_hi:[0,1]
	v_pk_fma_f16 v9, 0x34f2, v6, v12 op_sel_hi:[0,1,1]
	v_pk_add_f16 v10, v10, v26 op_sel:[0,1] op_sel_hi:[1,0]
	v_pk_fma_f16 v12, 0x34f2, v6, v13 op_sel_hi:[0,1,1]
	v_pk_add_f16 v13, v21, v26 op_sel:[0,1] op_sel_hi:[1,0] neg_lo:[0,1] neg_hi:[0,1]
	v_pk_fma_f16 v6, 0x34f2, v6, v24 op_sel_hi:[0,1,1]
	v_pk_mul_f16 v9, 0x38b43a79, v9 op_sel_hi:[1,0]
	v_pk_add_f16 v7, v11, v7
	v_pk_mul_f16 v11, 0x3a79, v12 op_sel_hi:[0,1]
	v_bfi_b32 v21, 0xffff, v13, v10
	v_pk_add_f16 v8, v29, v8
	v_bfi_b32 v10, 0xffff, v10, v13
	v_pk_fma_f16 v13, 0x3a7938b4, v6, v9 op_sel:[0,1,0]
	v_pk_fma_f16 v6, 0x3a7938b4, v6, v9 op_sel:[0,1,0] neg_lo:[0,0,1] neg_hi:[0,0,1]
	v_pk_fma_f16 v9, 0x38b4b8b4, v12, v11 op_sel:[0,0,1] op_sel_hi:[1,1,0] neg_lo:[0,0,1] neg_hi:[0,0,1]
	v_pk_fma_f16 v11, 0x34f2, v7, v21 op_sel_hi:[0,1,1]
	v_mul_u32_u24_e32 v33, 36, v0
	v_pk_add_f16 v8, v8, v20
	v_pk_fma_f16 v7, 0x34f2, v7, v10 op_sel_hi:[0,1,1]
	v_bfi_b32 v6, 0xffff, v13, v6
	v_pk_add_f16 v12, v11, v9 op_sel:[1,0] op_sel_hi:[0,1]
	v_pk_add_f16 v9, v11, v9 op_sel:[1,0] op_sel_hi:[0,1] neg_lo:[0,1] neg_hi:[0,1]
	v_pk_add_f16 v10, v23, v25
	v_add3_u32 v4, v4, v33, v16
	v_pk_add_f16 v13, v30, v8
	v_pk_add_f16 v20, v7, v6
	v_alignbit_b32 v11, v12, v12, 16
	v_pk_add_f16 v8, v30, v8 neg_lo:[0,1] neg_hi:[0,1]
	v_pk_add_f16 v6, v7, v6 neg_lo:[0,1] neg_hi:[0,1]
	v_perm_b32 v7, v19, v5, 0x5040100
	v_alignbit_b32 v9, v9, v9, 16
	v_perm_b32 v12, v18, v17, 0x5040100
	ds_write2_b32 v4, v10, v28 offset0:2 offset1:3
	ds_write2_b32 v4, v13, v20 offset1:1
	ds_write2_b32 v4, v11, v8 offset0:4 offset1:5
	ds_write2_b32 v4, v6, v7 offset0:6 offset1:7
	;; [unrolled: 1-line block ×3, first 2 shown]
.LBB0_21:
	s_or_b32 exec_lo, exec_lo, s1
	v_and_b32_e32 v4, 0xff, v0
	v_mov_b32_e32 v7, 6
	s_waitcnt lgkmcnt(0)
	s_barrier
	buffer_gl0_inv
	v_mul_lo_u16 v4, 0xcd, v4
	v_mov_b32_e32 v25, 2
	v_cmp_gt_u32_e64 s0, 10, v0
	v_lshrrev_b16 v4, 11, v4
	v_mul_lo_u16 v6, v4, 10
	v_and_b32_e32 v4, 0xffff, v4
	v_sub_nc_u16 v24, v0, v6
	v_mad_u32_u24 v4, 0x118, v4, 0
	v_mul_u32_u24_sdwa v6, v24, v7 dst_sel:DWORD dst_unused:UNUSED_PAD src0_sel:BYTE_0 src1_sel:DWORD
	v_lshlrev_b32_sdwa v24, v25, v24 dst_sel:DWORD dst_unused:UNUSED_PAD src0_sel:DWORD src1_sel:BYTE_0
	v_lshlrev_b32_e32 v10, 2, v6
	v_add3_u32 v16, v4, v24, v16
	s_clause 0x1
	global_load_dwordx4 v[6:9], v10, s[8:9]
	global_load_dwordx2 v[10:11], v10, s[8:9] offset:16
	ds_read2_b32 v[12:13], v1 offset0:30 offset1:60
	ds_read2_b32 v[20:21], v1 offset0:90 offset1:120
	;; [unrolled: 1-line block ×3, first 2 shown]
	ds_read_b32 v26, v15
	s_waitcnt vmcnt(0) lgkmcnt(0)
	s_barrier
	buffer_gl0_inv
	v_lshrrev_b32_e32 v27, 16, v12
	v_lshrrev_b32_e32 v28, 16, v13
	v_lshrrev_b32_e32 v25, 16, v20
	v_lshrrev_b32_e32 v29, 16, v21
	v_lshrrev_b32_e32 v30, 16, v22
	v_lshrrev_b32_e32 v31, 16, v23
	v_mul_f16_sdwa v4, v6, v27 dst_sel:DWORD dst_unused:UNUSED_PAD src0_sel:WORD_1 src1_sel:DWORD
	v_mul_f16_sdwa v24, v6, v12 dst_sel:DWORD dst_unused:UNUSED_PAD src0_sel:WORD_1 src1_sel:DWORD
	;; [unrolled: 1-line block ×12, first 2 shown]
	v_fma_f16 v4, v6, v12, -v4
	v_fmac_f16_e32 v24, v6, v27
	v_fma_f16 v6, v7, v13, -v32
	v_fmac_f16_e32 v33, v7, v28
	;; [unrolled: 2-line block ×3, first 2 shown]
	v_fma_f16 v8, v9, v21, -v36
	v_fma_f16 v12, v11, v23, -v40
	v_fmac_f16_e32 v41, v11, v31
	v_fmac_f16_e32 v37, v9, v29
	v_fma_f16 v9, v10, v22, -v38
	v_fmac_f16_e32 v39, v10, v30
	v_add_f16_e32 v10, v4, v12
	v_add_f16_e32 v11, v24, v41
	v_sub_f16_e32 v4, v4, v12
	v_add_f16_e32 v13, v6, v9
	v_add_f16_e32 v20, v33, v39
	v_sub_f16_e32 v12, v24, v41
	v_sub_f16_e32 v6, v6, v9
	;; [unrolled: 1-line block ×3, first 2 shown]
	v_add_f16_e32 v21, v7, v8
	v_add_f16_e32 v22, v35, v37
	v_sub_f16_e32 v7, v8, v7
	v_sub_f16_e32 v8, v37, v35
	v_add_f16_e32 v23, v13, v10
	v_add_f16_e32 v24, v20, v11
	v_sub_f16_e32 v25, v13, v10
	v_sub_f16_e32 v27, v20, v11
	;; [unrolled: 1-line block ×6, first 2 shown]
	v_add_f16_e32 v28, v7, v6
	v_add_f16_e32 v29, v8, v9
	v_sub_f16_e32 v30, v7, v6
	v_sub_f16_e32 v31, v8, v9
	;; [unrolled: 1-line block ×4, first 2 shown]
	v_add_f16_e32 v21, v21, v23
	v_add_f16_e32 v22, v22, v24
	v_sub_f16_e32 v7, v4, v7
	v_sub_f16_e32 v8, v12, v8
	v_add_f16_e32 v4, v28, v4
	v_add_f16_e32 v12, v29, v12
	v_mul_f16_e32 v10, 0x3a52, v10
	v_mul_f16_e32 v11, 0x3a52, v11
	;; [unrolled: 1-line block ×8, first 2 shown]
	v_add_f16_e32 v32, v21, v26
	v_add_f16_sdwa v26, v22, v26 dst_sel:DWORD dst_unused:UNUSED_PAD src0_sel:DWORD src1_sel:WORD_1
	v_fmamk_f16 v13, v13, 0x2b26, v10
	v_fmamk_f16 v20, v20, 0x2b26, v11
	v_fma_f16 v23, v25, 0x39e0, -v23
	v_fma_f16 v24, v27, 0x39e0, -v24
	;; [unrolled: 1-line block ×4, first 2 shown]
	v_fmamk_f16 v25, v7, 0x3574, v28
	v_fmamk_f16 v27, v8, 0x3574, v29
	v_fma_f16 v6, v6, 0x3b00, -v28
	v_fma_f16 v9, v9, 0x3b00, -v29
	;; [unrolled: 1-line block ×4, first 2 shown]
	v_fmamk_f16 v21, v21, 0xbcab, v32
	v_fmamk_f16 v22, v22, 0xbcab, v26
	v_fmac_f16_e32 v25, 0x370e, v4
	v_fmac_f16_e32 v27, 0x370e, v12
	;; [unrolled: 1-line block ×6, first 2 shown]
	v_add_f16_e32 v4, v13, v21
	v_add_f16_e32 v12, v20, v22
	;; [unrolled: 1-line block ×7, first 2 shown]
	v_sub_f16_e32 v22, v12, v25
	v_add_f16_e32 v23, v8, v10
	v_sub_f16_e32 v24, v11, v7
	v_sub_f16_e32 v28, v13, v9
	v_add_f16_e32 v29, v6, v20
	v_add_f16_e32 v9, v9, v13
	v_sub_f16_e32 v6, v20, v6
	v_sub_f16_e32 v8, v10, v8
	v_add_f16_e32 v7, v7, v11
	v_sub_f16_e32 v4, v4, v27
	v_add_f16_e32 v12, v25, v12
	v_pack_b32_f16 v26, v32, v26
	v_pack_b32_f16 v10, v21, v22
	;; [unrolled: 1-line block ×7, first 2 shown]
	ds_write2_b32 v16, v26, v10 offset1:10
	ds_write2_b32 v16, v11, v13 offset0:20 offset1:30
	ds_write2_b32 v16, v6, v7 offset0:40 offset1:50
	ds_write_b32 v16, v8 offset:240
	s_waitcnt lgkmcnt(0)
	s_barrier
	buffer_gl0_inv
	ds_read2_b32 v[6:7], v1 offset0:30 offset1:70
	ds_read2_b32 v[10:11], v1 offset0:100 offset1:140
	ds_read_b32 v13, v15
	ds_read_b32 v15, v1 offset:680
	s_and_saveexec_b32 s1, s0
	s_cbranch_execz .LBB0_23
; %bb.22:
	ds_read2_b32 v[4:5], v1 offset0:60 offset1:130
	ds_read_b32 v17, v1 offset:800
	s_waitcnt lgkmcnt(1)
	v_lshrrev_b32_e32 v12, 16, v4
	v_lshrrev_b32_e32 v19, 16, v5
	s_waitcnt lgkmcnt(0)
	v_lshrrev_b32_e32 v18, 16, v17
.LBB0_23:
	s_or_b32 exec_lo, exec_lo, s1
	v_lshlrev_b32_e32 v8, 1, v0
	v_mov_b32_e32 v9, 0
	s_waitcnt lgkmcnt(3)
	v_lshrrev_b32_e32 v16, 16, v7
	s_waitcnt lgkmcnt(2)
	v_lshrrev_b32_e32 v25, 16, v11
	;; [unrolled: 2-line block ×3, first 2 shown]
	v_lshrrev_b32_e32 v27, 16, v10
	v_lshlrev_b64 v[20:21], 2, v[8:9]
	v_add_nc_u32_e32 v8, 60, v8
	v_lshrrev_b32_e32 v24, 16, v13
	v_lshlrev_b64 v[22:23], 2, v[8:9]
	v_add_co_u32 v20, s1, s8, v20
	v_add_co_ci_u32_e64 v21, s1, s9, v21, s1
	v_lshrrev_b32_e32 v8, 16, v6
	v_add_co_u32 v22, s1, s8, v22
	global_load_dwordx2 v[20:21], v[20:21], off offset:240
	v_add_co_ci_u32_e64 v23, s1, s9, v23, s1
	global_load_dwordx2 v[22:23], v[22:23], off offset:240
	s_waitcnt vmcnt(0)
	s_barrier
	buffer_gl0_inv
	v_mul_f16_sdwa v28, v20, v16 dst_sel:DWORD dst_unused:UNUSED_PAD src0_sel:WORD_1 src1_sel:DWORD
	v_mul_f16_sdwa v29, v20, v7 dst_sel:DWORD dst_unused:UNUSED_PAD src0_sel:WORD_1 src1_sel:DWORD
	;; [unrolled: 1-line block ×4, first 2 shown]
	v_fma_f16 v7, v20, v7, -v28
	v_fmac_f16_e32 v29, v20, v16
	v_fma_f16 v11, v21, v11, -v30
	v_mul_f16_sdwa v16, v22, v27 dst_sel:DWORD dst_unused:UNUSED_PAD src0_sel:WORD_1 src1_sel:DWORD
	v_mul_f16_sdwa v20, v22, v10 dst_sel:DWORD dst_unused:UNUSED_PAD src0_sel:WORD_1 src1_sel:DWORD
	;; [unrolled: 1-line block ×4, first 2 shown]
	v_fmac_f16_e32 v31, v21, v25
	v_fma_f16 v10, v22, v10, -v16
	v_fmac_f16_e32 v20, v22, v27
	v_fma_f16 v15, v23, v15, -v28
	v_fmac_f16_e32 v30, v23, v26
	v_add_f16_e32 v16, v7, v13
	v_add_f16_e32 v23, v29, v24
	v_add_f16_e32 v25, v29, v31
	v_add_f16_e32 v21, v7, v11
	v_sub_f16_e32 v7, v7, v11
	v_add_f16_e32 v11, v16, v11
	v_add_f16_e32 v16, v23, v31
	v_fmac_f16_e32 v24, -0.5, v25
	v_add_f16_e32 v23, v10, v15
	v_sub_f16_e32 v25, v20, v30
	v_add_f16_e32 v26, v8, v20
	v_add_f16_e32 v20, v20, v30
	v_sub_f16_e32 v22, v29, v31
	v_fmac_f16_e32 v13, -0.5, v21
	v_add_f16_e32 v21, v6, v10
	v_sub_f16_e32 v10, v10, v15
	v_fmac_f16_e32 v6, -0.5, v23
	v_fmac_f16_e32 v8, -0.5, v20
	v_fmamk_f16 v27, v22, 0x3aee, v13
	v_fmac_f16_e32 v13, 0xbaee, v22
	v_fmamk_f16 v22, v7, 0xbaee, v24
	v_fmac_f16_e32 v24, 0x3aee, v7
	v_add_f16_e32 v7, v21, v15
	v_add_f16_e32 v15, v26, v30
	v_pack_b32_f16 v11, v11, v16
	v_fmamk_f16 v16, v25, 0x3aee, v6
	v_fmac_f16_e32 v6, 0xbaee, v25
	v_fmamk_f16 v20, v10, 0xbaee, v8
	v_fmac_f16_e32 v8, 0x3aee, v10
	v_pack_b32_f16 v10, v27, v22
	v_pack_b32_f16 v13, v13, v24
	;; [unrolled: 1-line block ×5, first 2 shown]
	ds_write2_b32 v1, v10, v13 offset0:70 offset1:140
	ds_write2_b32 v1, v11, v7 offset1:30
	ds_write2_b32 v1, v15, v6 offset0:100 offset1:170
	s_and_saveexec_b32 s1, s0
	s_cbranch_execz .LBB0_25
; %bb.24:
	v_cndmask_b32_e64 v6, -10, 60, s0
	v_add_lshl_u32 v8, v0, v6, 1
	v_lshlrev_b64 v[6:7], 2, v[8:9]
	v_add_co_u32 v6, s0, s8, v6
	v_add_co_ci_u32_e64 v7, s0, s9, v7, s0
	global_load_dwordx2 v[6:7], v[6:7], off offset:240
	s_waitcnt vmcnt(0)
	v_mul_f16_sdwa v8, v19, v6 dst_sel:DWORD dst_unused:UNUSED_PAD src0_sel:DWORD src1_sel:WORD_1
	v_mul_f16_sdwa v9, v5, v6 dst_sel:DWORD dst_unused:UNUSED_PAD src0_sel:DWORD src1_sel:WORD_1
	;; [unrolled: 1-line block ×4, first 2 shown]
	v_fma_f16 v5, v5, v6, -v8
	v_fmac_f16_e32 v9, v19, v6
	v_fmac_f16_e32 v10, v18, v7
	v_fma_f16 v6, v17, v7, -v11
	v_add_f16_e32 v13, v12, v9
	v_add_f16_e32 v7, v9, v10
	;; [unrolled: 1-line block ×3, first 2 shown]
	v_sub_f16_e32 v8, v5, v6
	v_add_f16_e32 v5, v4, v5
	v_sub_f16_e32 v9, v9, v10
	v_fma_f16 v7, -0.5, v7, v12
	v_fma_f16 v4, -0.5, v11, v4
	v_add_f16_e32 v10, v13, v10
	v_add_f16_e32 v5, v5, v6
	v_fmamk_f16 v6, v8, 0x3aee, v7
	v_fmac_f16_e32 v7, 0xbaee, v8
	v_fmamk_f16 v8, v9, 0xbaee, v4
	v_fmac_f16_e32 v4, 0x3aee, v9
	v_pack_b32_f16 v5, v5, v10
	v_pack_b32_f16 v6, v8, v6
	;; [unrolled: 1-line block ×3, first 2 shown]
	ds_write2_b32 v1, v5, v4 offset0:60 offset1:130
	ds_write_b32 v1, v6 offset:800
.LBB0_25:
	s_or_b32 exec_lo, exec_lo, s1
	s_waitcnt lgkmcnt(0)
	s_barrier
	buffer_gl0_inv
	s_and_saveexec_b32 s0, vcc_lo
	s_cbranch_execz .LBB0_27
; %bb.26:
	v_lshl_add_u32 v14, v0, 2, v14
	v_mov_b32_e32 v1, 0
	v_add_nc_u32_e32 v4, 30, v0
	v_add_co_u32 v15, vcc_lo, s2, v2
	ds_read2_b32 v[6:7], v14 offset1:30
	v_mov_b32_e32 v5, v1
	v_lshlrev_b64 v[8:9], 2, v[0:1]
	v_add_co_ci_u32_e32 v16, vcc_lo, s3, v3, vcc_lo
	v_add_nc_u32_e32 v2, 60, v0
	v_lshlrev_b64 v[4:5], 2, v[4:5]
	v_mov_b32_e32 v3, v1
	v_add_co_u32 v8, vcc_lo, v15, v8
	v_add_co_ci_u32_e32 v9, vcc_lo, v16, v9, vcc_lo
	v_add_co_u32 v4, vcc_lo, v15, v4
	v_add_co_ci_u32_e32 v5, vcc_lo, v16, v5, vcc_lo
	v_add_nc_u32_e32 v10, 0x5a, v0
	v_mov_b32_e32 v11, v1
	v_lshlrev_b64 v[2:3], 2, v[2:3]
	ds_read2_b32 v[12:13], v14 offset0:60 offset1:90
	s_waitcnt lgkmcnt(1)
	global_store_dword v[8:9], v6, off
	global_store_dword v[4:5], v7, off
	v_add_nc_u32_e32 v4, 0x78, v0
	v_mov_b32_e32 v5, v1
	v_lshlrev_b64 v[6:7], 2, v[10:11]
	ds_read2_b32 v[8:9], v14 offset0:120 offset1:150
	v_add_nc_u32_e32 v10, 0x96, v0
	ds_read_b32 v14, v14 offset:720
	v_add_co_u32 v2, vcc_lo, v15, v2
	v_lshlrev_b64 v[4:5], 2, v[4:5]
	v_add_nc_u32_e32 v0, 0xb4, v0
	v_add_co_ci_u32_e32 v3, vcc_lo, v16, v3, vcc_lo
	v_add_co_u32 v6, vcc_lo, v15, v6
	v_lshlrev_b64 v[10:11], 2, v[10:11]
	v_add_co_ci_u32_e32 v7, vcc_lo, v16, v7, vcc_lo
	v_add_co_u32 v4, vcc_lo, v15, v4
	v_lshlrev_b64 v[0:1], 2, v[0:1]
	v_add_co_ci_u32_e32 v5, vcc_lo, v16, v5, vcc_lo
	v_add_co_u32 v10, vcc_lo, v15, v10
	v_add_co_ci_u32_e32 v11, vcc_lo, v16, v11, vcc_lo
	v_add_co_u32 v0, vcc_lo, v15, v0
	v_add_co_ci_u32_e32 v1, vcc_lo, v16, v1, vcc_lo
	s_waitcnt lgkmcnt(2)
	global_store_dword v[2:3], v12, off
	global_store_dword v[6:7], v13, off
	s_waitcnt lgkmcnt(1)
	global_store_dword v[4:5], v8, off
	global_store_dword v[10:11], v9, off
	s_waitcnt lgkmcnt(0)
	global_store_dword v[0:1], v14, off
.LBB0_27:
	s_endpgm
	.section	.rodata,"a",@progbits
	.p2align	6, 0x0
	.amdhsa_kernel fft_rtc_fwd_len210_factors_10_7_3_wgs_60_tpt_30_half_ip_CI_unitstride_sbrr_C2R_dirReg
		.amdhsa_group_segment_fixed_size 0
		.amdhsa_private_segment_fixed_size 0
		.amdhsa_kernarg_size 88
		.amdhsa_user_sgpr_count 6
		.amdhsa_user_sgpr_private_segment_buffer 1
		.amdhsa_user_sgpr_dispatch_ptr 0
		.amdhsa_user_sgpr_queue_ptr 0
		.amdhsa_user_sgpr_kernarg_segment_ptr 1
		.amdhsa_user_sgpr_dispatch_id 0
		.amdhsa_user_sgpr_flat_scratch_init 0
		.amdhsa_user_sgpr_private_segment_size 0
		.amdhsa_wavefront_size32 1
		.amdhsa_uses_dynamic_stack 0
		.amdhsa_system_sgpr_private_segment_wavefront_offset 0
		.amdhsa_system_sgpr_workgroup_id_x 1
		.amdhsa_system_sgpr_workgroup_id_y 0
		.amdhsa_system_sgpr_workgroup_id_z 0
		.amdhsa_system_sgpr_workgroup_info 0
		.amdhsa_system_vgpr_workitem_id 0
		.amdhsa_next_free_vgpr 42
		.amdhsa_next_free_sgpr 21
		.amdhsa_reserve_vcc 1
		.amdhsa_reserve_flat_scratch 0
		.amdhsa_float_round_mode_32 0
		.amdhsa_float_round_mode_16_64 0
		.amdhsa_float_denorm_mode_32 3
		.amdhsa_float_denorm_mode_16_64 3
		.amdhsa_dx10_clamp 1
		.amdhsa_ieee_mode 1
		.amdhsa_fp16_overflow 0
		.amdhsa_workgroup_processor_mode 1
		.amdhsa_memory_ordered 1
		.amdhsa_forward_progress 0
		.amdhsa_shared_vgpr_count 0
		.amdhsa_exception_fp_ieee_invalid_op 0
		.amdhsa_exception_fp_denorm_src 0
		.amdhsa_exception_fp_ieee_div_zero 0
		.amdhsa_exception_fp_ieee_overflow 0
		.amdhsa_exception_fp_ieee_underflow 0
		.amdhsa_exception_fp_ieee_inexact 0
		.amdhsa_exception_int_div_zero 0
	.end_amdhsa_kernel
	.text
.Lfunc_end0:
	.size	fft_rtc_fwd_len210_factors_10_7_3_wgs_60_tpt_30_half_ip_CI_unitstride_sbrr_C2R_dirReg, .Lfunc_end0-fft_rtc_fwd_len210_factors_10_7_3_wgs_60_tpt_30_half_ip_CI_unitstride_sbrr_C2R_dirReg
                                        ; -- End function
	.section	.AMDGPU.csdata,"",@progbits
; Kernel info:
; codeLenInByte = 5388
; NumSgprs: 23
; NumVgprs: 42
; ScratchSize: 0
; MemoryBound: 0
; FloatMode: 240
; IeeeMode: 1
; LDSByteSize: 0 bytes/workgroup (compile time only)
; SGPRBlocks: 2
; VGPRBlocks: 5
; NumSGPRsForWavesPerEU: 23
; NumVGPRsForWavesPerEU: 42
; Occupancy: 16
; WaveLimiterHint : 1
; COMPUTE_PGM_RSRC2:SCRATCH_EN: 0
; COMPUTE_PGM_RSRC2:USER_SGPR: 6
; COMPUTE_PGM_RSRC2:TRAP_HANDLER: 0
; COMPUTE_PGM_RSRC2:TGID_X_EN: 1
; COMPUTE_PGM_RSRC2:TGID_Y_EN: 0
; COMPUTE_PGM_RSRC2:TGID_Z_EN: 0
; COMPUTE_PGM_RSRC2:TIDIG_COMP_CNT: 0
	.text
	.p2alignl 6, 3214868480
	.fill 48, 4, 3214868480
	.type	__hip_cuid_1dbd587635ce8d53,@object ; @__hip_cuid_1dbd587635ce8d53
	.section	.bss,"aw",@nobits
	.globl	__hip_cuid_1dbd587635ce8d53
__hip_cuid_1dbd587635ce8d53:
	.byte	0                               ; 0x0
	.size	__hip_cuid_1dbd587635ce8d53, 1

	.ident	"AMD clang version 19.0.0git (https://github.com/RadeonOpenCompute/llvm-project roc-6.4.0 25133 c7fe45cf4b819c5991fe208aaa96edf142730f1d)"
	.section	".note.GNU-stack","",@progbits
	.addrsig
	.addrsig_sym __hip_cuid_1dbd587635ce8d53
	.amdgpu_metadata
---
amdhsa.kernels:
  - .args:
      - .actual_access:  read_only
        .address_space:  global
        .offset:         0
        .size:           8
        .value_kind:     global_buffer
      - .offset:         8
        .size:           8
        .value_kind:     by_value
      - .actual_access:  read_only
        .address_space:  global
        .offset:         16
        .size:           8
        .value_kind:     global_buffer
      - .actual_access:  read_only
        .address_space:  global
        .offset:         24
        .size:           8
        .value_kind:     global_buffer
      - .offset:         32
        .size:           8
        .value_kind:     by_value
      - .actual_access:  read_only
        .address_space:  global
        .offset:         40
        .size:           8
        .value_kind:     global_buffer
      - .actual_access:  read_only
        .address_space:  global
        .offset:         48
        .size:           8
        .value_kind:     global_buffer
      - .offset:         56
        .size:           4
        .value_kind:     by_value
      - .actual_access:  read_only
        .address_space:  global
        .offset:         64
        .size:           8
        .value_kind:     global_buffer
      - .actual_access:  read_only
        .address_space:  global
        .offset:         72
        .size:           8
        .value_kind:     global_buffer
      - .address_space:  global
        .offset:         80
        .size:           8
        .value_kind:     global_buffer
    .group_segment_fixed_size: 0
    .kernarg_segment_align: 8
    .kernarg_segment_size: 88
    .language:       OpenCL C
    .language_version:
      - 2
      - 0
    .max_flat_workgroup_size: 60
    .name:           fft_rtc_fwd_len210_factors_10_7_3_wgs_60_tpt_30_half_ip_CI_unitstride_sbrr_C2R_dirReg
    .private_segment_fixed_size: 0
    .sgpr_count:     23
    .sgpr_spill_count: 0
    .symbol:         fft_rtc_fwd_len210_factors_10_7_3_wgs_60_tpt_30_half_ip_CI_unitstride_sbrr_C2R_dirReg.kd
    .uniform_work_group_size: 1
    .uses_dynamic_stack: false
    .vgpr_count:     42
    .vgpr_spill_count: 0
    .wavefront_size: 32
    .workgroup_processor_mode: 1
amdhsa.target:   amdgcn-amd-amdhsa--gfx1030
amdhsa.version:
  - 1
  - 2
...

	.end_amdgpu_metadata
